;; amdgpu-corpus repo=zjin-lcf/HeCBench kind=compiled arch=gfx906 opt=O3
	.amdgcn_target "amdgcn-amd-amdhsa--gfx906"
	.amdhsa_code_object_version 6
	.section	.text._ZN4tsne5utils21BroadcastColumnVectorIN6thrust23THRUST_200600_302600_NS7dividesIfEEfEEvPT0_PKS6_iiT_S6_,"axG",@progbits,_ZN4tsne5utils21BroadcastColumnVectorIN6thrust23THRUST_200600_302600_NS7dividesIfEEfEEvPT0_PKS6_iiT_S6_,comdat
	.protected	_ZN4tsne5utils21BroadcastColumnVectorIN6thrust23THRUST_200600_302600_NS7dividesIfEEfEEvPT0_PKS6_iiT_S6_ ; -- Begin function _ZN4tsne5utils21BroadcastColumnVectorIN6thrust23THRUST_200600_302600_NS7dividesIfEEfEEvPT0_PKS6_iiT_S6_
	.globl	_ZN4tsne5utils21BroadcastColumnVectorIN6thrust23THRUST_200600_302600_NS7dividesIfEEfEEvPT0_PKS6_iiT_S6_
	.p2align	8
	.type	_ZN4tsne5utils21BroadcastColumnVectorIN6thrust23THRUST_200600_302600_NS7dividesIfEEfEEvPT0_PKS6_iiT_S6_,@function
_ZN4tsne5utils21BroadcastColumnVectorIN6thrust23THRUST_200600_302600_NS7dividesIfEEfEEvPT0_PKS6_iiT_S6_: ; @_ZN4tsne5utils21BroadcastColumnVectorIN6thrust23THRUST_200600_302600_NS7dividesIfEEfEEvPT0_PKS6_iiT_S6_
; %bb.0:
	s_load_dwordx2 s[0:1], s[4:5], 0x10
	s_load_dword s2, s[4:5], 0x2c
	s_waitcnt lgkmcnt(0)
	s_abs_i32 s3, s0
	v_cvt_f32_u32_e32 v1, s3
	s_sub_i32 s7, 0, s3
	s_and_b32 s2, s2, 0xffff
	s_mul_i32 s6, s6, s2
	v_rcp_iflag_f32_e32 v1, v1
	v_add_u32_e32 v0, s6, v0
	v_sub_u32_e32 v3, 0, v0
	v_max_i32_e32 v3, v0, v3
	v_mul_f32_e32 v1, 0x4f7ffffe, v1
	v_cvt_u32_f32_e32 v1, v1
	v_xor_b32_e32 v4, s0, v0
	v_ashrrev_i32_e32 v4, 31, v4
	v_mul_lo_u32 v2, s7, v1
	v_mul_hi_u32 v2, v1, v2
	v_add_u32_e32 v1, v1, v2
	v_mul_hi_u32 v1, v3, v1
	v_mul_lo_u32 v2, v1, s3
	v_add_u32_e32 v5, 1, v1
	v_sub_u32_e32 v2, v3, v2
	v_cmp_le_u32_e32 vcc, s3, v2
	v_subrev_u32_e32 v3, s3, v2
	v_cndmask_b32_e32 v1, v1, v5, vcc
	v_cndmask_b32_e32 v2, v2, v3, vcc
	v_add_u32_e32 v3, 1, v1
	v_cmp_le_u32_e32 vcc, s3, v2
	v_cndmask_b32_e32 v1, v1, v3, vcc
	v_xor_b32_e32 v1, v1, v4
	v_sub_u32_e32 v1, v1, v4
	v_cmp_gt_i32_e32 vcc, s1, v1
	s_and_saveexec_b64 s[2:3], vcc
	s_cbranch_execz .LBB0_2
; %bb.1:
	v_mul_lo_u32 v2, v1, s0
	s_load_dwordx4 s[0:3], s[4:5], 0x0
	s_load_dword s6, s[4:5], 0x1c
	v_ashrrev_i32_e32 v1, 31, v0
	v_sub_u32_e32 v2, v0, v2
	v_ashrrev_i32_e32 v3, 31, v2
	v_lshlrev_b64 v[2:3], 2, v[2:3]
	v_lshlrev_b64 v[0:1], 2, v[0:1]
	s_waitcnt lgkmcnt(0)
	v_mov_b32_e32 v5, s3
	v_add_co_u32_e32 v2, vcc, s2, v2
	v_addc_co_u32_e32 v3, vcc, v5, v3, vcc
	v_mov_b32_e32 v4, s1
	v_add_co_u32_e32 v0, vcc, s0, v0
	global_load_dword v2, v[2:3], off
	v_addc_co_u32_e32 v1, vcc, v4, v1, vcc
	global_load_dword v3, v[0:1], off
	s_waitcnt vmcnt(1)
	v_mul_f32_e32 v2, s6, v2
	s_waitcnt vmcnt(0)
	v_div_scale_f32 v4, s[0:1], v2, v2, v3
	v_div_scale_f32 v5, vcc, v3, v2, v3
	v_rcp_f32_e32 v6, v4
	v_fma_f32 v7, -v4, v6, 1.0
	v_fmac_f32_e32 v6, v7, v6
	v_mul_f32_e32 v7, v5, v6
	v_fma_f32 v8, -v4, v7, v5
	v_fmac_f32_e32 v7, v8, v6
	v_fma_f32 v4, -v4, v7, v5
	v_div_fmas_f32 v4, v4, v6, v7
	v_div_fixup_f32 v2, v4, v2, v3
	global_store_dword v[0:1], v2, off
.LBB0_2:
	s_endpgm
	.section	.rodata,"a",@progbits
	.p2align	6, 0x0
	.amdhsa_kernel _ZN4tsne5utils21BroadcastColumnVectorIN6thrust23THRUST_200600_302600_NS7dividesIfEEfEEvPT0_PKS6_iiT_S6_
		.amdhsa_group_segment_fixed_size 0
		.amdhsa_private_segment_fixed_size 0
		.amdhsa_kernarg_size 288
		.amdhsa_user_sgpr_count 6
		.amdhsa_user_sgpr_private_segment_buffer 1
		.amdhsa_user_sgpr_dispatch_ptr 0
		.amdhsa_user_sgpr_queue_ptr 0
		.amdhsa_user_sgpr_kernarg_segment_ptr 1
		.amdhsa_user_sgpr_dispatch_id 0
		.amdhsa_user_sgpr_flat_scratch_init 0
		.amdhsa_user_sgpr_private_segment_size 0
		.amdhsa_uses_dynamic_stack 0
		.amdhsa_system_sgpr_private_segment_wavefront_offset 0
		.amdhsa_system_sgpr_workgroup_id_x 1
		.amdhsa_system_sgpr_workgroup_id_y 0
		.amdhsa_system_sgpr_workgroup_id_z 0
		.amdhsa_system_sgpr_workgroup_info 0
		.amdhsa_system_vgpr_workitem_id 0
		.amdhsa_next_free_vgpr 9
		.amdhsa_next_free_sgpr 8
		.amdhsa_reserve_vcc 1
		.amdhsa_reserve_flat_scratch 0
		.amdhsa_float_round_mode_32 0
		.amdhsa_float_round_mode_16_64 0
		.amdhsa_float_denorm_mode_32 3
		.amdhsa_float_denorm_mode_16_64 3
		.amdhsa_dx10_clamp 1
		.amdhsa_ieee_mode 1
		.amdhsa_fp16_overflow 0
		.amdhsa_exception_fp_ieee_invalid_op 0
		.amdhsa_exception_fp_denorm_src 0
		.amdhsa_exception_fp_ieee_div_zero 0
		.amdhsa_exception_fp_ieee_overflow 0
		.amdhsa_exception_fp_ieee_underflow 0
		.amdhsa_exception_fp_ieee_inexact 0
		.amdhsa_exception_int_div_zero 0
	.end_amdhsa_kernel
	.section	.text._ZN4tsne5utils21BroadcastColumnVectorIN6thrust23THRUST_200600_302600_NS7dividesIfEEfEEvPT0_PKS6_iiT_S6_,"axG",@progbits,_ZN4tsne5utils21BroadcastColumnVectorIN6thrust23THRUST_200600_302600_NS7dividesIfEEfEEvPT0_PKS6_iiT_S6_,comdat
.Lfunc_end0:
	.size	_ZN4tsne5utils21BroadcastColumnVectorIN6thrust23THRUST_200600_302600_NS7dividesIfEEfEEvPT0_PKS6_iiT_S6_, .Lfunc_end0-_ZN4tsne5utils21BroadcastColumnVectorIN6thrust23THRUST_200600_302600_NS7dividesIfEEfEEvPT0_PKS6_iiT_S6_
                                        ; -- End function
	.set _ZN4tsne5utils21BroadcastColumnVectorIN6thrust23THRUST_200600_302600_NS7dividesIfEEfEEvPT0_PKS6_iiT_S6_.num_vgpr, 9
	.set _ZN4tsne5utils21BroadcastColumnVectorIN6thrust23THRUST_200600_302600_NS7dividesIfEEfEEvPT0_PKS6_iiT_S6_.num_agpr, 0
	.set _ZN4tsne5utils21BroadcastColumnVectorIN6thrust23THRUST_200600_302600_NS7dividesIfEEfEEvPT0_PKS6_iiT_S6_.numbered_sgpr, 8
	.set _ZN4tsne5utils21BroadcastColumnVectorIN6thrust23THRUST_200600_302600_NS7dividesIfEEfEEvPT0_PKS6_iiT_S6_.num_named_barrier, 0
	.set _ZN4tsne5utils21BroadcastColumnVectorIN6thrust23THRUST_200600_302600_NS7dividesIfEEfEEvPT0_PKS6_iiT_S6_.private_seg_size, 0
	.set _ZN4tsne5utils21BroadcastColumnVectorIN6thrust23THRUST_200600_302600_NS7dividesIfEEfEEvPT0_PKS6_iiT_S6_.uses_vcc, 1
	.set _ZN4tsne5utils21BroadcastColumnVectorIN6thrust23THRUST_200600_302600_NS7dividesIfEEfEEvPT0_PKS6_iiT_S6_.uses_flat_scratch, 0
	.set _ZN4tsne5utils21BroadcastColumnVectorIN6thrust23THRUST_200600_302600_NS7dividesIfEEfEEvPT0_PKS6_iiT_S6_.has_dyn_sized_stack, 0
	.set _ZN4tsne5utils21BroadcastColumnVectorIN6thrust23THRUST_200600_302600_NS7dividesIfEEfEEvPT0_PKS6_iiT_S6_.has_recursion, 0
	.set _ZN4tsne5utils21BroadcastColumnVectorIN6thrust23THRUST_200600_302600_NS7dividesIfEEfEEvPT0_PKS6_iiT_S6_.has_indirect_call, 0
	.section	.AMDGPU.csdata,"",@progbits
; Kernel info:
; codeLenInByte = 364
; TotalNumSgprs: 12
; NumVgprs: 9
; ScratchSize: 0
; MemoryBound: 0
; FloatMode: 240
; IeeeMode: 1
; LDSByteSize: 0 bytes/workgroup (compile time only)
; SGPRBlocks: 1
; VGPRBlocks: 2
; NumSGPRsForWavesPerEU: 12
; NumVGPRsForWavesPerEU: 9
; Occupancy: 10
; WaveLimiterHint : 0
; COMPUTE_PGM_RSRC2:SCRATCH_EN: 0
; COMPUTE_PGM_RSRC2:USER_SGPR: 6
; COMPUTE_PGM_RSRC2:TRAP_HANDLER: 0
; COMPUTE_PGM_RSRC2:TGID_X_EN: 1
; COMPUTE_PGM_RSRC2:TGID_Y_EN: 0
; COMPUTE_PGM_RSRC2:TGID_Z_EN: 0
; COMPUTE_PGM_RSRC2:TIDIG_COMP_CNT: 0
	.section	.text._ZN4tsne5utils21BroadcastColumnVectorIN6thrust23THRUST_200600_302600_NS5minusIfEEfEEvPT0_PKS6_iiT_S6_,"axG",@progbits,_ZN4tsne5utils21BroadcastColumnVectorIN6thrust23THRUST_200600_302600_NS5minusIfEEfEEvPT0_PKS6_iiT_S6_,comdat
	.protected	_ZN4tsne5utils21BroadcastColumnVectorIN6thrust23THRUST_200600_302600_NS5minusIfEEfEEvPT0_PKS6_iiT_S6_ ; -- Begin function _ZN4tsne5utils21BroadcastColumnVectorIN6thrust23THRUST_200600_302600_NS5minusIfEEfEEvPT0_PKS6_iiT_S6_
	.globl	_ZN4tsne5utils21BroadcastColumnVectorIN6thrust23THRUST_200600_302600_NS5minusIfEEfEEvPT0_PKS6_iiT_S6_
	.p2align	8
	.type	_ZN4tsne5utils21BroadcastColumnVectorIN6thrust23THRUST_200600_302600_NS5minusIfEEfEEvPT0_PKS6_iiT_S6_,@function
_ZN4tsne5utils21BroadcastColumnVectorIN6thrust23THRUST_200600_302600_NS5minusIfEEfEEvPT0_PKS6_iiT_S6_: ; @_ZN4tsne5utils21BroadcastColumnVectorIN6thrust23THRUST_200600_302600_NS5minusIfEEfEEvPT0_PKS6_iiT_S6_
; %bb.0:
	s_load_dwordx2 s[0:1], s[4:5], 0x10
	s_load_dword s2, s[4:5], 0x2c
	s_waitcnt lgkmcnt(0)
	s_abs_i32 s3, s0
	v_cvt_f32_u32_e32 v1, s3
	s_sub_i32 s7, 0, s3
	s_and_b32 s2, s2, 0xffff
	s_mul_i32 s6, s6, s2
	v_rcp_iflag_f32_e32 v1, v1
	v_add_u32_e32 v0, s6, v0
	v_sub_u32_e32 v3, 0, v0
	v_max_i32_e32 v3, v0, v3
	v_mul_f32_e32 v1, 0x4f7ffffe, v1
	v_cvt_u32_f32_e32 v1, v1
	v_xor_b32_e32 v4, s0, v0
	v_ashrrev_i32_e32 v4, 31, v4
	v_mul_lo_u32 v2, s7, v1
	v_mul_hi_u32 v2, v1, v2
	v_add_u32_e32 v1, v1, v2
	v_mul_hi_u32 v1, v3, v1
	v_mul_lo_u32 v2, v1, s3
	v_add_u32_e32 v5, 1, v1
	v_sub_u32_e32 v2, v3, v2
	v_cmp_le_u32_e32 vcc, s3, v2
	v_subrev_u32_e32 v3, s3, v2
	v_cndmask_b32_e32 v1, v1, v5, vcc
	v_cndmask_b32_e32 v2, v2, v3, vcc
	v_add_u32_e32 v3, 1, v1
	v_cmp_le_u32_e32 vcc, s3, v2
	v_cndmask_b32_e32 v1, v1, v3, vcc
	v_xor_b32_e32 v1, v1, v4
	v_sub_u32_e32 v1, v1, v4
	v_cmp_gt_i32_e32 vcc, s1, v1
	s_and_saveexec_b64 s[2:3], vcc
	s_cbranch_execz .LBB1_2
; %bb.1:
	v_mul_lo_u32 v2, v1, s0
	s_load_dwordx4 s[0:3], s[4:5], 0x0
	s_load_dword s6, s[4:5], 0x1c
	v_ashrrev_i32_e32 v1, 31, v0
	v_sub_u32_e32 v2, v0, v2
	v_lshlrev_b64 v[0:1], 2, v[0:1]
	s_waitcnt lgkmcnt(0)
	v_mov_b32_e32 v3, s1
	v_add_co_u32_e32 v0, vcc, s0, v0
	v_addc_co_u32_e32 v1, vcc, v3, v1, vcc
	v_ashrrev_i32_e32 v3, 31, v2
	v_lshlrev_b64 v[2:3], 2, v[2:3]
	v_mov_b32_e32 v4, s3
	v_add_co_u32_e32 v2, vcc, s2, v2
	v_addc_co_u32_e32 v3, vcc, v4, v3, vcc
	global_load_dword v4, v[2:3], off
	global_load_dword v5, v[0:1], off
	s_waitcnt vmcnt(0)
	v_fma_f32 v2, -s6, v4, v5
	global_store_dword v[0:1], v2, off
.LBB1_2:
	s_endpgm
	.section	.rodata,"a",@progbits
	.p2align	6, 0x0
	.amdhsa_kernel _ZN4tsne5utils21BroadcastColumnVectorIN6thrust23THRUST_200600_302600_NS5minusIfEEfEEvPT0_PKS6_iiT_S6_
		.amdhsa_group_segment_fixed_size 0
		.amdhsa_private_segment_fixed_size 0
		.amdhsa_kernarg_size 288
		.amdhsa_user_sgpr_count 6
		.amdhsa_user_sgpr_private_segment_buffer 1
		.amdhsa_user_sgpr_dispatch_ptr 0
		.amdhsa_user_sgpr_queue_ptr 0
		.amdhsa_user_sgpr_kernarg_segment_ptr 1
		.amdhsa_user_sgpr_dispatch_id 0
		.amdhsa_user_sgpr_flat_scratch_init 0
		.amdhsa_user_sgpr_private_segment_size 0
		.amdhsa_uses_dynamic_stack 0
		.amdhsa_system_sgpr_private_segment_wavefront_offset 0
		.amdhsa_system_sgpr_workgroup_id_x 1
		.amdhsa_system_sgpr_workgroup_id_y 0
		.amdhsa_system_sgpr_workgroup_id_z 0
		.amdhsa_system_sgpr_workgroup_info 0
		.amdhsa_system_vgpr_workitem_id 0
		.amdhsa_next_free_vgpr 6
		.amdhsa_next_free_sgpr 8
		.amdhsa_reserve_vcc 1
		.amdhsa_reserve_flat_scratch 0
		.amdhsa_float_round_mode_32 0
		.amdhsa_float_round_mode_16_64 0
		.amdhsa_float_denorm_mode_32 3
		.amdhsa_float_denorm_mode_16_64 3
		.amdhsa_dx10_clamp 1
		.amdhsa_ieee_mode 1
		.amdhsa_fp16_overflow 0
		.amdhsa_exception_fp_ieee_invalid_op 0
		.amdhsa_exception_fp_denorm_src 0
		.amdhsa_exception_fp_ieee_div_zero 0
		.amdhsa_exception_fp_ieee_overflow 0
		.amdhsa_exception_fp_ieee_underflow 0
		.amdhsa_exception_fp_ieee_inexact 0
		.amdhsa_exception_int_div_zero 0
	.end_amdhsa_kernel
	.section	.text._ZN4tsne5utils21BroadcastColumnVectorIN6thrust23THRUST_200600_302600_NS5minusIfEEfEEvPT0_PKS6_iiT_S6_,"axG",@progbits,_ZN4tsne5utils21BroadcastColumnVectorIN6thrust23THRUST_200600_302600_NS5minusIfEEfEEvPT0_PKS6_iiT_S6_,comdat
.Lfunc_end1:
	.size	_ZN4tsne5utils21BroadcastColumnVectorIN6thrust23THRUST_200600_302600_NS5minusIfEEfEEvPT0_PKS6_iiT_S6_, .Lfunc_end1-_ZN4tsne5utils21BroadcastColumnVectorIN6thrust23THRUST_200600_302600_NS5minusIfEEfEEvPT0_PKS6_iiT_S6_
                                        ; -- End function
	.set _ZN4tsne5utils21BroadcastColumnVectorIN6thrust23THRUST_200600_302600_NS5minusIfEEfEEvPT0_PKS6_iiT_S6_.num_vgpr, 6
	.set _ZN4tsne5utils21BroadcastColumnVectorIN6thrust23THRUST_200600_302600_NS5minusIfEEfEEvPT0_PKS6_iiT_S6_.num_agpr, 0
	.set _ZN4tsne5utils21BroadcastColumnVectorIN6thrust23THRUST_200600_302600_NS5minusIfEEfEEvPT0_PKS6_iiT_S6_.numbered_sgpr, 8
	.set _ZN4tsne5utils21BroadcastColumnVectorIN6thrust23THRUST_200600_302600_NS5minusIfEEfEEvPT0_PKS6_iiT_S6_.num_named_barrier, 0
	.set _ZN4tsne5utils21BroadcastColumnVectorIN6thrust23THRUST_200600_302600_NS5minusIfEEfEEvPT0_PKS6_iiT_S6_.private_seg_size, 0
	.set _ZN4tsne5utils21BroadcastColumnVectorIN6thrust23THRUST_200600_302600_NS5minusIfEEfEEvPT0_PKS6_iiT_S6_.uses_vcc, 1
	.set _ZN4tsne5utils21BroadcastColumnVectorIN6thrust23THRUST_200600_302600_NS5minusIfEEfEEvPT0_PKS6_iiT_S6_.uses_flat_scratch, 0
	.set _ZN4tsne5utils21BroadcastColumnVectorIN6thrust23THRUST_200600_302600_NS5minusIfEEfEEvPT0_PKS6_iiT_S6_.has_dyn_sized_stack, 0
	.set _ZN4tsne5utils21BroadcastColumnVectorIN6thrust23THRUST_200600_302600_NS5minusIfEEfEEvPT0_PKS6_iiT_S6_.has_recursion, 0
	.set _ZN4tsne5utils21BroadcastColumnVectorIN6thrust23THRUST_200600_302600_NS5minusIfEEfEEvPT0_PKS6_iiT_S6_.has_indirect_call, 0
	.section	.AMDGPU.csdata,"",@progbits
; Kernel info:
; codeLenInByte = 292
; TotalNumSgprs: 12
; NumVgprs: 6
; ScratchSize: 0
; MemoryBound: 0
; FloatMode: 240
; IeeeMode: 1
; LDSByteSize: 0 bytes/workgroup (compile time only)
; SGPRBlocks: 1
; VGPRBlocks: 1
; NumSGPRsForWavesPerEU: 12
; NumVGPRsForWavesPerEU: 6
; Occupancy: 10
; WaveLimiterHint : 0
; COMPUTE_PGM_RSRC2:SCRATCH_EN: 0
; COMPUTE_PGM_RSRC2:USER_SGPR: 6
; COMPUTE_PGM_RSRC2:TRAP_HANDLER: 0
; COMPUTE_PGM_RSRC2:TGID_X_EN: 1
; COMPUTE_PGM_RSRC2:TGID_Y_EN: 0
; COMPUTE_PGM_RSRC2:TGID_Z_EN: 0
; COMPUTE_PGM_RSRC2:TIDIG_COMP_CNT: 0
	.section	.text._ZN4tsne5utils21BroadcastColumnVectorIN6thrust23THRUST_200600_302600_NS10multipliesINS3_7complexIfEEEES6_EEvPT0_PKS8_iiT_S8_,"axG",@progbits,_ZN4tsne5utils21BroadcastColumnVectorIN6thrust23THRUST_200600_302600_NS10multipliesINS3_7complexIfEEEES6_EEvPT0_PKS8_iiT_S8_,comdat
	.protected	_ZN4tsne5utils21BroadcastColumnVectorIN6thrust23THRUST_200600_302600_NS10multipliesINS3_7complexIfEEEES6_EEvPT0_PKS8_iiT_S8_ ; -- Begin function _ZN4tsne5utils21BroadcastColumnVectorIN6thrust23THRUST_200600_302600_NS10multipliesINS3_7complexIfEEEES6_EEvPT0_PKS8_iiT_S8_
	.globl	_ZN4tsne5utils21BroadcastColumnVectorIN6thrust23THRUST_200600_302600_NS10multipliesINS3_7complexIfEEEES6_EEvPT0_PKS8_iiT_S8_
	.p2align	8
	.type	_ZN4tsne5utils21BroadcastColumnVectorIN6thrust23THRUST_200600_302600_NS10multipliesINS3_7complexIfEEEES6_EEvPT0_PKS8_iiT_S8_,@function
_ZN4tsne5utils21BroadcastColumnVectorIN6thrust23THRUST_200600_302600_NS10multipliesINS3_7complexIfEEEES6_EEvPT0_PKS8_iiT_S8_: ; @_ZN4tsne5utils21BroadcastColumnVectorIN6thrust23THRUST_200600_302600_NS10multipliesINS3_7complexIfEEEES6_EEvPT0_PKS8_iiT_S8_
; %bb.0:
	s_load_dwordx2 s[0:1], s[4:5], 0x10
	s_load_dword s2, s[4:5], 0x34
	s_waitcnt lgkmcnt(0)
	s_abs_i32 s3, s0
	v_cvt_f32_u32_e32 v1, s3
	s_sub_i32 s7, 0, s3
	s_and_b32 s2, s2, 0xffff
	s_mul_i32 s6, s6, s2
	v_rcp_iflag_f32_e32 v1, v1
	v_add_u32_e32 v0, s6, v0
	v_sub_u32_e32 v3, 0, v0
	v_max_i32_e32 v3, v0, v3
	v_mul_f32_e32 v1, 0x4f7ffffe, v1
	v_cvt_u32_f32_e32 v1, v1
	v_xor_b32_e32 v4, s0, v0
	v_ashrrev_i32_e32 v4, 31, v4
	v_mul_lo_u32 v2, s7, v1
	v_mul_hi_u32 v2, v1, v2
	v_add_u32_e32 v1, v1, v2
	v_mul_hi_u32 v1, v3, v1
	v_mul_lo_u32 v2, v1, s3
	v_add_u32_e32 v5, 1, v1
	v_sub_u32_e32 v2, v3, v2
	v_cmp_le_u32_e32 vcc, s3, v2
	v_subrev_u32_e32 v3, s3, v2
	v_cndmask_b32_e32 v1, v1, v5, vcc
	v_cndmask_b32_e32 v2, v2, v3, vcc
	v_add_u32_e32 v3, 1, v1
	v_cmp_le_u32_e32 vcc, s3, v2
	v_cndmask_b32_e32 v1, v1, v3, vcc
	v_xor_b32_e32 v1, v1, v4
	v_sub_u32_e32 v1, v1, v4
	v_cmp_gt_i32_e32 vcc, s1, v1
	s_and_saveexec_b64 s[2:3], vcc
	s_cbranch_execz .LBB2_2
; %bb.1:
	v_mul_lo_u32 v2, v1, s0
	s_load_dwordx4 s[0:3], s[4:5], 0x0
	s_load_dwordx2 s[6:7], s[4:5], 0x20
	v_ashrrev_i32_e32 v1, 31, v0
	v_sub_u32_e32 v2, v0, v2
	v_ashrrev_i32_e32 v3, 31, v2
	v_lshlrev_b64 v[2:3], 3, v[2:3]
	v_lshlrev_b64 v[0:1], 3, v[0:1]
	s_waitcnt lgkmcnt(0)
	v_mov_b32_e32 v5, s3
	v_add_co_u32_e32 v2, vcc, s2, v2
	v_addc_co_u32_e32 v3, vcc, v5, v3, vcc
	v_mov_b32_e32 v4, s1
	global_load_dwordx2 v[2:3], v[2:3], off
	v_add_co_u32_e32 v0, vcc, s0, v0
	v_addc_co_u32_e32 v1, vcc, v4, v1, vcc
	global_load_dwordx2 v[4:5], v[0:1], off
	s_waitcnt vmcnt(1)
	v_mul_f32_e32 v6, s7, v3
	v_mul_f32_e32 v3, s6, v3
	v_fmac_f32_e32 v3, s7, v2
	v_fma_f32 v6, s6, v2, -v6
	s_waitcnt vmcnt(0)
	v_mul_f32_e32 v2, v5, v3
	v_mul_f32_e32 v3, v4, v3
	v_fma_f32 v2, v4, v6, -v2
	v_fmac_f32_e32 v3, v5, v6
	global_store_dwordx2 v[0:1], v[2:3], off
.LBB2_2:
	s_endpgm
	.section	.rodata,"a",@progbits
	.p2align	6, 0x0
	.amdhsa_kernel _ZN4tsne5utils21BroadcastColumnVectorIN6thrust23THRUST_200600_302600_NS10multipliesINS3_7complexIfEEEES6_EEvPT0_PKS8_iiT_S8_
		.amdhsa_group_segment_fixed_size 0
		.amdhsa_private_segment_fixed_size 0
		.amdhsa_kernarg_size 296
		.amdhsa_user_sgpr_count 6
		.amdhsa_user_sgpr_private_segment_buffer 1
		.amdhsa_user_sgpr_dispatch_ptr 0
		.amdhsa_user_sgpr_queue_ptr 0
		.amdhsa_user_sgpr_kernarg_segment_ptr 1
		.amdhsa_user_sgpr_dispatch_id 0
		.amdhsa_user_sgpr_flat_scratch_init 0
		.amdhsa_user_sgpr_private_segment_size 0
		.amdhsa_uses_dynamic_stack 0
		.amdhsa_system_sgpr_private_segment_wavefront_offset 0
		.amdhsa_system_sgpr_workgroup_id_x 1
		.amdhsa_system_sgpr_workgroup_id_y 0
		.amdhsa_system_sgpr_workgroup_id_z 0
		.amdhsa_system_sgpr_workgroup_info 0
		.amdhsa_system_vgpr_workitem_id 0
		.amdhsa_next_free_vgpr 7
		.amdhsa_next_free_sgpr 8
		.amdhsa_reserve_vcc 1
		.amdhsa_reserve_flat_scratch 0
		.amdhsa_float_round_mode_32 0
		.amdhsa_float_round_mode_16_64 0
		.amdhsa_float_denorm_mode_32 3
		.amdhsa_float_denorm_mode_16_64 3
		.amdhsa_dx10_clamp 1
		.amdhsa_ieee_mode 1
		.amdhsa_fp16_overflow 0
		.amdhsa_exception_fp_ieee_invalid_op 0
		.amdhsa_exception_fp_denorm_src 0
		.amdhsa_exception_fp_ieee_div_zero 0
		.amdhsa_exception_fp_ieee_overflow 0
		.amdhsa_exception_fp_ieee_underflow 0
		.amdhsa_exception_fp_ieee_inexact 0
		.amdhsa_exception_int_div_zero 0
	.end_amdhsa_kernel
	.section	.text._ZN4tsne5utils21BroadcastColumnVectorIN6thrust23THRUST_200600_302600_NS10multipliesINS3_7complexIfEEEES6_EEvPT0_PKS8_iiT_S8_,"axG",@progbits,_ZN4tsne5utils21BroadcastColumnVectorIN6thrust23THRUST_200600_302600_NS10multipliesINS3_7complexIfEEEES6_EEvPT0_PKS8_iiT_S8_,comdat
.Lfunc_end2:
	.size	_ZN4tsne5utils21BroadcastColumnVectorIN6thrust23THRUST_200600_302600_NS10multipliesINS3_7complexIfEEEES6_EEvPT0_PKS8_iiT_S8_, .Lfunc_end2-_ZN4tsne5utils21BroadcastColumnVectorIN6thrust23THRUST_200600_302600_NS10multipliesINS3_7complexIfEEEES6_EEvPT0_PKS8_iiT_S8_
                                        ; -- End function
	.set _ZN4tsne5utils21BroadcastColumnVectorIN6thrust23THRUST_200600_302600_NS10multipliesINS3_7complexIfEEEES6_EEvPT0_PKS8_iiT_S8_.num_vgpr, 7
	.set _ZN4tsne5utils21BroadcastColumnVectorIN6thrust23THRUST_200600_302600_NS10multipliesINS3_7complexIfEEEES6_EEvPT0_PKS8_iiT_S8_.num_agpr, 0
	.set _ZN4tsne5utils21BroadcastColumnVectorIN6thrust23THRUST_200600_302600_NS10multipliesINS3_7complexIfEEEES6_EEvPT0_PKS8_iiT_S8_.numbered_sgpr, 8
	.set _ZN4tsne5utils21BroadcastColumnVectorIN6thrust23THRUST_200600_302600_NS10multipliesINS3_7complexIfEEEES6_EEvPT0_PKS8_iiT_S8_.num_named_barrier, 0
	.set _ZN4tsne5utils21BroadcastColumnVectorIN6thrust23THRUST_200600_302600_NS10multipliesINS3_7complexIfEEEES6_EEvPT0_PKS8_iiT_S8_.private_seg_size, 0
	.set _ZN4tsne5utils21BroadcastColumnVectorIN6thrust23THRUST_200600_302600_NS10multipliesINS3_7complexIfEEEES6_EEvPT0_PKS8_iiT_S8_.uses_vcc, 1
	.set _ZN4tsne5utils21BroadcastColumnVectorIN6thrust23THRUST_200600_302600_NS10multipliesINS3_7complexIfEEEES6_EEvPT0_PKS8_iiT_S8_.uses_flat_scratch, 0
	.set _ZN4tsne5utils21BroadcastColumnVectorIN6thrust23THRUST_200600_302600_NS10multipliesINS3_7complexIfEEEES6_EEvPT0_PKS8_iiT_S8_.has_dyn_sized_stack, 0
	.set _ZN4tsne5utils21BroadcastColumnVectorIN6thrust23THRUST_200600_302600_NS10multipliesINS3_7complexIfEEEES6_EEvPT0_PKS8_iiT_S8_.has_recursion, 0
	.set _ZN4tsne5utils21BroadcastColumnVectorIN6thrust23THRUST_200600_302600_NS10multipliesINS3_7complexIfEEEES6_EEvPT0_PKS8_iiT_S8_.has_indirect_call, 0
	.section	.AMDGPU.csdata,"",@progbits
; Kernel info:
; codeLenInByte = 328
; TotalNumSgprs: 12
; NumVgprs: 7
; ScratchSize: 0
; MemoryBound: 0
; FloatMode: 240
; IeeeMode: 1
; LDSByteSize: 0 bytes/workgroup (compile time only)
; SGPRBlocks: 1
; VGPRBlocks: 1
; NumSGPRsForWavesPerEU: 12
; NumVGPRsForWavesPerEU: 7
; Occupancy: 10
; WaveLimiterHint : 0
; COMPUTE_PGM_RSRC2:SCRATCH_EN: 0
; COMPUTE_PGM_RSRC2:USER_SGPR: 6
; COMPUTE_PGM_RSRC2:TRAP_HANDLER: 0
; COMPUTE_PGM_RSRC2:TGID_X_EN: 1
; COMPUTE_PGM_RSRC2:TGID_Y_EN: 0
; COMPUTE_PGM_RSRC2:TGID_Z_EN: 0
; COMPUTE_PGM_RSRC2:TIDIG_COMP_CNT: 0
	.section	.AMDGPU.gpr_maximums,"",@progbits
	.set amdgpu.max_num_vgpr, 0
	.set amdgpu.max_num_agpr, 0
	.set amdgpu.max_num_sgpr, 0
	.section	.AMDGPU.csdata,"",@progbits
	.type	__hip_cuid_8a830343598ba4f9,@object ; @__hip_cuid_8a830343598ba4f9
	.section	.bss,"aw",@nobits
	.globl	__hip_cuid_8a830343598ba4f9
__hip_cuid_8a830343598ba4f9:
	.byte	0                               ; 0x0
	.size	__hip_cuid_8a830343598ba4f9, 1

	.ident	"AMD clang version 22.0.0git (https://github.com/RadeonOpenCompute/llvm-project roc-7.2.4 26084 f58b06dce1f9c15707c5f808fd002e18c2accf7e)"
	.section	".note.GNU-stack","",@progbits
	.addrsig
	.addrsig_sym __hip_cuid_8a830343598ba4f9
	.amdgpu_metadata
---
amdhsa.kernels:
  - .args:
      - .address_space:  global
        .offset:         0
        .size:           8
        .value_kind:     global_buffer
      - .actual_access:  read_only
        .address_space:  global
        .offset:         8
        .size:           8
        .value_kind:     global_buffer
      - .offset:         16
        .size:           4
        .value_kind:     by_value
      - .offset:         20
        .size:           4
        .value_kind:     by_value
      - .offset:         24
        .size:           1
        .value_kind:     by_value
      - .offset:         28
        .size:           4
        .value_kind:     by_value
      - .offset:         32
        .size:           4
        .value_kind:     hidden_block_count_x
      - .offset:         36
        .size:           4
        .value_kind:     hidden_block_count_y
      - .offset:         40
        .size:           4
        .value_kind:     hidden_block_count_z
      - .offset:         44
        .size:           2
        .value_kind:     hidden_group_size_x
      - .offset:         46
        .size:           2
        .value_kind:     hidden_group_size_y
      - .offset:         48
        .size:           2
        .value_kind:     hidden_group_size_z
      - .offset:         50
        .size:           2
        .value_kind:     hidden_remainder_x
      - .offset:         52
        .size:           2
        .value_kind:     hidden_remainder_y
      - .offset:         54
        .size:           2
        .value_kind:     hidden_remainder_z
      - .offset:         72
        .size:           8
        .value_kind:     hidden_global_offset_x
      - .offset:         80
        .size:           8
        .value_kind:     hidden_global_offset_y
      - .offset:         88
        .size:           8
        .value_kind:     hidden_global_offset_z
      - .offset:         96
        .size:           2
        .value_kind:     hidden_grid_dims
    .group_segment_fixed_size: 0
    .kernarg_segment_align: 8
    .kernarg_segment_size: 288
    .language:       OpenCL C
    .language_version:
      - 2
      - 0
    .max_flat_workgroup_size: 1024
    .name:           _ZN4tsne5utils21BroadcastColumnVectorIN6thrust23THRUST_200600_302600_NS7dividesIfEEfEEvPT0_PKS6_iiT_S6_
    .private_segment_fixed_size: 0
    .sgpr_count:     12
    .sgpr_spill_count: 0
    .symbol:         _ZN4tsne5utils21BroadcastColumnVectorIN6thrust23THRUST_200600_302600_NS7dividesIfEEfEEvPT0_PKS6_iiT_S6_.kd
    .uniform_work_group_size: 1
    .uses_dynamic_stack: false
    .vgpr_count:     9
    .vgpr_spill_count: 0
    .wavefront_size: 64
  - .args:
      - .address_space:  global
        .offset:         0
        .size:           8
        .value_kind:     global_buffer
      - .actual_access:  read_only
        .address_space:  global
        .offset:         8
        .size:           8
        .value_kind:     global_buffer
      - .offset:         16
        .size:           4
        .value_kind:     by_value
      - .offset:         20
        .size:           4
        .value_kind:     by_value
      - .offset:         24
        .size:           1
        .value_kind:     by_value
      - .offset:         28
        .size:           4
        .value_kind:     by_value
      - .offset:         32
        .size:           4
        .value_kind:     hidden_block_count_x
      - .offset:         36
        .size:           4
        .value_kind:     hidden_block_count_y
      - .offset:         40
        .size:           4
        .value_kind:     hidden_block_count_z
      - .offset:         44
        .size:           2
        .value_kind:     hidden_group_size_x
      - .offset:         46
        .size:           2
        .value_kind:     hidden_group_size_y
      - .offset:         48
        .size:           2
        .value_kind:     hidden_group_size_z
      - .offset:         50
        .size:           2
        .value_kind:     hidden_remainder_x
      - .offset:         52
        .size:           2
        .value_kind:     hidden_remainder_y
      - .offset:         54
        .size:           2
        .value_kind:     hidden_remainder_z
      - .offset:         72
        .size:           8
        .value_kind:     hidden_global_offset_x
      - .offset:         80
        .size:           8
        .value_kind:     hidden_global_offset_y
      - .offset:         88
        .size:           8
        .value_kind:     hidden_global_offset_z
      - .offset:         96
        .size:           2
        .value_kind:     hidden_grid_dims
    .group_segment_fixed_size: 0
    .kernarg_segment_align: 8
    .kernarg_segment_size: 288
    .language:       OpenCL C
    .language_version:
      - 2
      - 0
    .max_flat_workgroup_size: 1024
    .name:           _ZN4tsne5utils21BroadcastColumnVectorIN6thrust23THRUST_200600_302600_NS5minusIfEEfEEvPT0_PKS6_iiT_S6_
    .private_segment_fixed_size: 0
    .sgpr_count:     12
    .sgpr_spill_count: 0
    .symbol:         _ZN4tsne5utils21BroadcastColumnVectorIN6thrust23THRUST_200600_302600_NS5minusIfEEfEEvPT0_PKS6_iiT_S6_.kd
    .uniform_work_group_size: 1
    .uses_dynamic_stack: false
    .vgpr_count:     6
    .vgpr_spill_count: 0
    .wavefront_size: 64
  - .args:
      - .address_space:  global
        .offset:         0
        .size:           8
        .value_kind:     global_buffer
      - .actual_access:  read_only
        .address_space:  global
        .offset:         8
        .size:           8
        .value_kind:     global_buffer
      - .offset:         16
        .size:           4
        .value_kind:     by_value
      - .offset:         20
        .size:           4
        .value_kind:     by_value
      - .offset:         24
        .size:           1
        .value_kind:     by_value
      - .offset:         32
        .size:           8
        .value_kind:     by_value
      - .offset:         40
        .size:           4
        .value_kind:     hidden_block_count_x
      - .offset:         44
        .size:           4
        .value_kind:     hidden_block_count_y
      - .offset:         48
        .size:           4
        .value_kind:     hidden_block_count_z
      - .offset:         52
        .size:           2
        .value_kind:     hidden_group_size_x
      - .offset:         54
        .size:           2
        .value_kind:     hidden_group_size_y
      - .offset:         56
        .size:           2
        .value_kind:     hidden_group_size_z
      - .offset:         58
        .size:           2
        .value_kind:     hidden_remainder_x
      - .offset:         60
        .size:           2
        .value_kind:     hidden_remainder_y
      - .offset:         62
        .size:           2
        .value_kind:     hidden_remainder_z
      - .offset:         80
        .size:           8
        .value_kind:     hidden_global_offset_x
      - .offset:         88
        .size:           8
        .value_kind:     hidden_global_offset_y
      - .offset:         96
        .size:           8
        .value_kind:     hidden_global_offset_z
      - .offset:         104
        .size:           2
        .value_kind:     hidden_grid_dims
    .group_segment_fixed_size: 0
    .kernarg_segment_align: 8
    .kernarg_segment_size: 296
    .language:       OpenCL C
    .language_version:
      - 2
      - 0
    .max_flat_workgroup_size: 1024
    .name:           _ZN4tsne5utils21BroadcastColumnVectorIN6thrust23THRUST_200600_302600_NS10multipliesINS3_7complexIfEEEES6_EEvPT0_PKS8_iiT_S8_
    .private_segment_fixed_size: 0
    .sgpr_count:     12
    .sgpr_spill_count: 0
    .symbol:         _ZN4tsne5utils21BroadcastColumnVectorIN6thrust23THRUST_200600_302600_NS10multipliesINS3_7complexIfEEEES6_EEvPT0_PKS8_iiT_S8_.kd
    .uniform_work_group_size: 1
    .uses_dynamic_stack: false
    .vgpr_count:     7
    .vgpr_spill_count: 0
    .wavefront_size: 64
amdhsa.target:   amdgcn-amd-amdhsa--gfx906
amdhsa.version:
  - 1
  - 2
...

	.end_amdgpu_metadata
